;; amdgpu-corpus repo=triton-lang/triton kind=triton arch=gfx90a opt=O3 lang=triton
	.amdgcn_target "amdgcn-amd-amdhsa--gfx90a"
	.amdhsa_code_object_version 5
	.text
	.globl	indirect_matmul_kernel          ; -- Begin function indirect_matmul_kernel
	.p2align	8
	.type	indirect_matmul_kernel,@function
indirect_matmul_kernel:                 ; @indirect_matmul_kernel
.Lfunc_begin0:
	.cfi_sections .debug_frame
	.cfi_startproc
; %bb.7:
	.file	1 "/root/src/amdgpu-assembly/repos/triton-lang__triton-aot" "indirect_matmul.py"
	.loc	1 8 0 prologue_end              ; indirect_matmul.py:8:0
	s_load_dwordx2 s[6:7], s[4:5], 0x0
	s_load_dwordx8 s[8:15], s[4:5], 0x8
	s_waitcnt lgkmcnt(0)
	s_branch .LBB0_0
	.loc	1 0 0 is_stmt 0                 ; :0:0
.Ltmp0:
	.p2align	8
; %bb.8:
.LBB0_0:
	s_load_dword s2, s[4:5], 0x38
	v_and_b32_e32 v21, 31, v0
.Ltmp1:
	.loc	1 32 25 is_stmt 1               ; indirect_matmul.py:32:25
	s_waitcnt lgkmcnt(0)
	s_cmp_gt_i32 s2, 0
	s_cbranch_scc1 .LBB0_3
; %bb.1:                                ; %.._crit_edge_crit_edge
	.loc	1 0 25 is_stmt 0                ; indirect_matmul.py:0:25
	v_and_b32_e32 v24, 32, v0
	v_and_b32_e32 v25, 64, v0
	s_cbranch_execz .LBB0_4
; %bb.2:
	v_mov_b32_e32 v17, 0
	v_mov_b32_e32 v16, v17
	;; [unrolled: 1-line block ×16, first 2 shown]
	s_branch .LBB0_6
.LBB0_3:
	v_and_b32_e32 v24, 32, v0
	v_and_b32_e32 v25, 64, v0
.LBB0_4:                                ; %.lr.ph
	.loc	1 25 26 is_stmt 1               ; indirect_matmul.py:25:26
	v_and_b32_e32 v1, 63, v0
	.loc	1 28 17                         ; indirect_matmul.py:28:17
	v_lshlrev_b32_e32 v2, 1, v1
	s_load_dwordx2 s[16:17], s[4:5], 0x30
	s_load_dword s0, s[4:5], 0x28
	v_mov_b32_e32 v1, s11
	v_add_co_u32_e32 v18, vcc, s10, v2
	v_addc_co_u32_e32 v1, vcc, 0, v1, vcc
	.loc	1 29 17                         ; indirect_matmul.py:29:17
	v_mov_b32_e32 v3, s15
	v_add_co_u32_e32 v20, vcc, s14, v2
	.loc	1 23 40                         ; indirect_matmul.py:23:40
	v_and_b32_e32 v2, 0xc0, v0
	.loc	1 29 17                         ; indirect_matmul.py:29:17
	v_addc_co_u32_e32 v19, vcc, 0, v3, vcc
	.loc	1 23 27                         ; indirect_matmul.py:23:27
	v_lshrrev_b32_e32 v3, 4, v2
	s_waitcnt lgkmcnt(0)
	v_mov_b32_e32 v4, s17
	v_add_co_u32_e32 v3, vcc, s16, v3
	v_addc_co_u32_e32 v4, vcc, 0, v4, vcc
	s_movk_i32 s1, 0x70
	v_add_co_u32_e32 v22, vcc, s1, v3
	v_addc_co_u32_e32 v23, vcc, 0, v4, vcc
	v_lshlrev_b32_e32 v2, 2, v2
	v_lshlrev_b32_e32 v4, 6, v24
	;; [unrolled: 1-line block ×3, first 2 shown]
	v_add3_u32 v4, 0, v2, v4
	v_lshlrev_b32_e32 v2, 5, v24
	v_and_b32_e32 v5, 0x800, v5
	v_add3_u32 v5, 0, v2, v5
	v_lshlrev_b32_e32 v6, 1, v0
	v_lshl_add_u32 v2, v24, 4, 0
	v_lshlrev_b32_e32 v3, 3, v21
	v_or_b32_e32 v7, 0x600, v6
	v_or_b32_e32 v8, 0xe00, v6
	v_lshl_add_u32 v9, v21, 1, v2
	v_mov_b32_e32 v2, 0
	s_mov_b32 s1, 0
	s_mov_b32 s3, 0x5040100
	v_add_u32_e32 v26, v4, v3
	v_add_u32_e32 v27, v5, v3
	;; [unrolled: 1-line block ×6, first 2 shown]
	s_mov_b32 s4, 0x7060302
	v_mov_b32_e32 v3, v2
	v_mov_b32_e32 v4, v2
	;; [unrolled: 1-line block ×15, first 2 shown]
.LBB0_5:                                ; =>This Inner Loop Header: Depth=1
	.loc	1 33 22                         ; indirect_matmul.py:33:22
	global_load_dword v33, v[22:23], off offset:-112
	global_load_dword v35, v[22:23], off offset:-96
	;; [unrolled: 1-line block ×7, first 2 shown]
	global_load_dword v47, v[22:23], off
	.loc	1 32 25                         ; indirect_matmul.py:32:25
	s_add_i32 s1, s1, 32
	s_cmp_lt_i32 s1, s2
	.loc	1 35 44                         ; indirect_matmul.py:35:44
	s_waitcnt vmcnt(7)
	v_mul_lo_u32 v32, v33, s12
	.loc	1 36 44                         ; indirect_matmul.py:36:44
	v_mul_lo_u32 v48, v33, s0
	.loc	1 35 29                         ; indirect_matmul.py:35:29
	v_ashrrev_i32_e32 v33, 31, v32
	.loc	1 35 44 is_stmt 0               ; indirect_matmul.py:35:44
	s_waitcnt vmcnt(6)
	v_mul_lo_u32 v34, v35, s12
	.loc	1 35 29                         ; indirect_matmul.py:35:29
	v_lshlrev_b64 v[32:33], 1, v[32:33]
	.loc	1 36 44 is_stmt 1               ; indirect_matmul.py:36:44
	v_mul_lo_u32 v50, v35, s0
	.loc	1 35 29                         ; indirect_matmul.py:35:29
	v_ashrrev_i32_e32 v35, 31, v34
	v_add_co_u32_e32 v32, vcc, v18, v32
	.loc	1 35 44 is_stmt 0               ; indirect_matmul.py:35:44
	s_waitcnt vmcnt(5)
	v_mul_lo_u32 v36, v37, s12
	.loc	1 35 29                         ; indirect_matmul.py:35:29
	v_lshlrev_b64 v[34:35], 1, v[34:35]
	v_addc_co_u32_e32 v33, vcc, v1, v33, vcc
	.loc	1 36 44 is_stmt 1               ; indirect_matmul.py:36:44
	v_mul_lo_u32 v52, v37, s0
	.loc	1 35 29                         ; indirect_matmul.py:35:29
	v_ashrrev_i32_e32 v37, 31, v36
	v_add_co_u32_e32 v34, vcc, v18, v34
	.loc	1 35 44 is_stmt 0               ; indirect_matmul.py:35:44
	s_waitcnt vmcnt(4)
	v_mul_lo_u32 v38, v39, s12
	.loc	1 35 29                         ; indirect_matmul.py:35:29
	v_lshlrev_b64 v[36:37], 1, v[36:37]
	v_addc_co_u32_e32 v35, vcc, v1, v35, vcc
	;; [unrolled: 11-line block ×6, first 2 shown]
	.loc	1 36 44 is_stmt 1               ; indirect_matmul.py:36:44
	v_mul_lo_u32 v62, v47, s0
	.loc	1 35 29                         ; indirect_matmul.py:35:29
	v_ashrrev_i32_e32 v47, 31, v46
	v_add_co_u32_e32 v44, vcc, v18, v44
	v_lshlrev_b64 v[46:47], 1, v[46:47]
	v_addc_co_u32_e32 v45, vcc, v1, v45, vcc
	.loc	1 36 29                         ; indirect_matmul.py:36:29
	v_ashrrev_i32_e32 v49, 31, v48
	.loc	1 35 29                         ; indirect_matmul.py:35:29
	v_add_co_u32_e32 v46, vcc, v18, v46
	.loc	1 36 29                         ; indirect_matmul.py:36:29
	v_lshlrev_b64 v[48:49], 1, v[48:49]
	.loc	1 35 29                         ; indirect_matmul.py:35:29
	v_addc_co_u32_e32 v47, vcc, v1, v47, vcc
	.loc	1 36 29                         ; indirect_matmul.py:36:29
	v_ashrrev_i32_e32 v51, 31, v50
	v_add_co_u32_e32 v48, vcc, v20, v48
	v_lshlrev_b64 v[50:51], 1, v[50:51]
	v_addc_co_u32_e32 v49, vcc, v19, v49, vcc
	v_ashrrev_i32_e32 v53, 31, v52
	v_add_co_u32_e32 v50, vcc, v20, v50
	v_lshlrev_b64 v[52:53], 1, v[52:53]
	v_addc_co_u32_e32 v51, vcc, v19, v51, vcc
	;; [unrolled: 4-line block ×7, first 2 shown]
	v_add_co_u32_e32 v62, vcc, v20, v62
	v_addc_co_u32_e32 v63, vcc, v19, v63, vcc
	.loc	1 36 20 is_stmt 0               ; indirect_matmul.py:36:20
	global_load_ushort v64, v[48:49], off
	global_load_ushort v65, v[50:51], off
	;; [unrolled: 1-line block ×8, first 2 shown]
	.loc	1 35 20 is_stmt 1               ; indirect_matmul.py:35:20
	global_load_ushort v72, v[32:33], off
	global_load_ushort v73, v[34:35], off
	;; [unrolled: 1-line block ×7, first 2 shown]
                                        ; kill: killed $vgpr58 killed $vgpr59
                                        ; kill: killed $vgpr36 killed $vgpr37
                                        ; kill: killed $vgpr60 killed $vgpr61
                                        ; kill: killed $vgpr38 killed $vgpr39
                                        ; kill: killed $vgpr62 killed $vgpr63
                                        ; kill: killed $vgpr40 killed $vgpr41
                                        ; kill: killed $vgpr42 killed $vgpr43
                                        ; kill: killed $vgpr48 killed $vgpr49
                                        ; kill: killed $vgpr44 killed $vgpr45
                                        ; kill: killed $vgpr50 killed $vgpr51
                                        ; kill: killed $vgpr52 killed $vgpr53
                                        ; kill: killed $vgpr54 killed $vgpr55
                                        ; kill: killed $vgpr32 killed $vgpr33
                                        ; kill: killed $vgpr56 killed $vgpr57
                                        ; kill: killed $vgpr34 killed $vgpr35
	s_nop 0
	global_load_ushort v40, v[46:47], off
	.loc	1 38 21                         ; indirect_matmul.py:38:21
	s_waitcnt lgkmcnt(0)
	s_barrier
	.loc	1 39 22                         ; indirect_matmul.py:39:22
	v_add_co_u32_e32 v22, vcc, 0x80, v22
	v_addc_co_u32_e32 v23, vcc, 0, v23, vcc
	.loc	1 38 21                         ; indirect_matmul.py:38:21
	s_waitcnt vmcnt(11)
	v_perm_b32 v33, v68, v66, s3
	s_waitcnt vmcnt(10)
	v_perm_b32 v32, v69, v64, s3
	;; [unrolled: 2-line block ×4, first 2 shown]
	ds_write2st64_b64 v26, v[32:33], v[34:35] offset1:2
	s_waitcnt lgkmcnt(0)
	s_barrier
	ds_read2_b64 v[32:35], v27 offset1:32
	ds_read2_b64 v[36:39], v27 offset0:64 offset1:96
	.loc	1 35 20                         ; indirect_matmul.py:35:20
	s_waitcnt lgkmcnt(0)
	s_barrier
	s_waitcnt vmcnt(7)
	ds_write_b16 v28, v72
	s_waitcnt vmcnt(6)
	ds_write_b16 v28, v73 offset:512
	s_waitcnt vmcnt(5)
	ds_write_b16 v28, v74 offset:1024
	s_waitcnt vmcnt(4)
	ds_write_b16 v29, v75
	s_waitcnt vmcnt(3)
	ds_write_b16 v28, v76 offset:2048
	s_waitcnt vmcnt(2)
	ds_write_b16 v28, v77 offset:2560
	;; [unrolled: 2-line block ×3, first 2 shown]
	s_waitcnt vmcnt(0)
	ds_write_b16 v30, v40
	s_waitcnt lgkmcnt(0)
	s_barrier
	ds_read_u16 v40, v31
	ds_read_u16 v41, v31 offset:256
	ds_read_u16 v42, v31 offset:384
	;; [unrolled: 1-line block ×6, first 2 shown]
	.loc	1 38 26                         ; indirect_matmul.py:38:26
	s_waitcnt lgkmcnt(4)
	v_perm_b32 v41, v42, v41, s3
	v_perm_b32 v42, v34, v32, s3
	s_waitcnt lgkmcnt(0)
	v_perm_b32 v40, v43, v40, s3
	v_perm_b32 v43, v38, v36, s3
	s_nop 1
	v_mfma_f32_32x32x8bf16_1k v[2:17], v[40:41], v[42:43], v[2:17]
	.loc	1 35 20                         ; indirect_matmul.py:35:20
	ds_read_u16 v40, v31 offset:1280
	.loc	1 38 26                         ; indirect_matmul.py:38:26
	v_perm_b32 v42, v34, v32, s4
	v_perm_b32 v43, v38, v36, s4
	s_waitcnt lgkmcnt(0)
	v_perm_b32 v41, v45, v40, s3
	v_perm_b32 v40, v46, v44, s3
	.loc	1 35 20                         ; indirect_matmul.py:35:20
	ds_read_u16 v44, v31 offset:2048
	.loc	1 38 26                         ; indirect_matmul.py:38:26
	s_nop 0
	v_mfma_f32_32x32x8bf16_1k v[2:17], v[40:41], v[42:43], v[2:17]
	.loc	1 35 20                         ; indirect_matmul.py:35:20
	ds_read_u16 v32, v31 offset:2304
	ds_read_u16 v34, v31 offset:2432
	;; [unrolled: 1-line block ×6, first 2 shown]
	.loc	1 38 26                         ; indirect_matmul.py:38:26
	s_waitcnt lgkmcnt(4)
	v_perm_b32 v41, v34, v32, s3
	.loc	1 35 20                         ; indirect_matmul.py:35:20
	ds_read_u16 v32, v31 offset:3328
	.loc	1 38 26                         ; indirect_matmul.py:38:26
	v_perm_b32 v42, v35, v33, s3
	v_perm_b32 v43, v39, v37, s3
	s_waitcnt lgkmcnt(1)
	v_perm_b32 v40, v40, v44, s3
	s_nop 1
	v_mfma_f32_32x32x8bf16_1k v[2:17], v[40:41], v[42:43], v[2:17]
	s_waitcnt lgkmcnt(0)
	v_perm_b32 v41, v38, v32, s3
	v_perm_b32 v40, v45, v36, s3
	;; [unrolled: 1-line block ×4, first 2 shown]
	s_nop 1
	v_mfma_f32_32x32x8bf16_1k v[2:17], v[40:41], v[32:33], v[2:17]
	.loc	1 32 25                         ; indirect_matmul.py:32:25
	s_cbranch_scc1 .LBB0_5
.LBB0_6:                                ; %._crit_edge
	.loc	1 26 35                         ; indirect_matmul.py:26:35
	v_lshrrev_b32_e32 v1, 3, v24
	v_lshrrev_b32_e32 v18, 1, v25
	.loc	1 42 28                         ; indirect_matmul.py:42:28
	v_lshrrev_b32_e32 v0, 2, v0
	.loc	1 26 35                         ; indirect_matmul.py:26:35
	v_or_b32_e32 v18, v1, v18
	.loc	1 42 28                         ; indirect_matmul.py:42:28
	v_and_or_b32 v0, v0, 32, v21
	.loc	1 42 21 is_stmt 0               ; indirect_matmul.py:42:21
	v_mov_b32_e32 v1, 0
	v_lshlrev_b64 v[0:1], 2, v[0:1]
	v_mov_b32_e32 v21, s7
	v_add_co_u32_e32 v48, vcc, s6, v0
	.loc	1 42 48                         ; indirect_matmul.py:42:48
	v_mul_lo_u32 v0, v18, s8
	.loc	1 26 35 is_stmt 1               ; indirect_matmul.py:26:35
	v_or_b32_e32 v34, 1, v18
	.loc	1 42 21                         ; indirect_matmul.py:42:21
	v_addc_co_u32_e32 v49, vcc, v21, v1, vcc
	.loc	1 42 39 is_stmt 0               ; indirect_matmul.py:42:39
	v_ashrrev_i32_e32 v1, 31, v0
	.loc	1 26 35 is_stmt 1               ; indirect_matmul.py:26:35
	v_or_b32_e32 v19, 27, v18
	v_or_b32_e32 v23, 26, v18
	;; [unrolled: 1-line block ×14, first 2 shown]
	.loc	1 42 48                         ; indirect_matmul.py:42:48
	v_mul_lo_u32 v18, v34, s8
	.loc	1 42 39 is_stmt 0               ; indirect_matmul.py:42:39
	v_lshlrev_b64 v[0:1], 2, v[0:1]
	.loc	1 42 48                         ; indirect_matmul.py:42:48
	v_mul_lo_u32 v46, v19, s8
	.loc	1 42 39                         ; indirect_matmul.py:42:39
	v_add_co_u32_e32 v0, vcc, v48, v0
	v_ashrrev_i32_e32 v19, 31, v18
	.loc	1 42 48                         ; indirect_matmul.py:42:48
	v_mul_lo_u32 v20, v20, s8
	.loc	1 42 39                         ; indirect_matmul.py:42:39
	v_addc_co_u32_e32 v1, vcc, v49, v1, vcc
	v_lshlrev_b64 v[18:19], 2, v[18:19]
	v_add_co_u32_e32 v18, vcc, v48, v18
	v_ashrrev_i32_e32 v21, 31, v20
	.loc	1 42 48                         ; indirect_matmul.py:42:48
	v_mul_lo_u32 v22, v22, s8
	.loc	1 42 39                         ; indirect_matmul.py:42:39
	v_addc_co_u32_e32 v19, vcc, v49, v19, vcc
	v_lshlrev_b64 v[20:21], 2, v[20:21]
	.loc	1 42 48                         ; indirect_matmul.py:42:48
	v_mul_lo_u32 v44, v23, s8
	.loc	1 42 39                         ; indirect_matmul.py:42:39
	v_add_co_u32_e32 v20, vcc, v48, v20
	v_ashrrev_i32_e32 v23, 31, v22
	.loc	1 42 48                         ; indirect_matmul.py:42:48
	v_mul_lo_u32 v24, v24, s8
	.loc	1 42 39                         ; indirect_matmul.py:42:39
	v_addc_co_u32_e32 v21, vcc, v49, v21, vcc
	v_lshlrev_b64 v[22:23], 2, v[22:23]
	.loc	1 42 48                         ; indirect_matmul.py:42:48
	v_mul_lo_u32 v42, v25, s8
	.loc	1 42 39                         ; indirect_matmul.py:42:39
	;; [unrolled: 10-line block ×6, first 2 shown]
	v_add_co_u32_e32 v30, vcc, v48, v30
	v_ashrrev_i32_e32 v33, 31, v32
	v_addc_co_u32_e32 v31, vcc, v49, v31, vcc
	v_lshlrev_b64 v[32:33], 2, v[32:33]
	v_add_co_u32_e32 v32, vcc, v48, v32
	v_ashrrev_i32_e32 v35, 31, v34
	v_addc_co_u32_e32 v33, vcc, v49, v33, vcc
	v_lshlrev_b64 v[34:35], 2, v[34:35]
	;; [unrolled: 4-line block ×8, first 2 shown]
	v_add_co_u32_e32 v46, vcc, v48, v46
	v_addc_co_u32_e32 v47, vcc, v49, v47, vcc
	.loc	1 43 23 is_stmt 1               ; indirect_matmul.py:43:23
	global_store_dword v[0:1], v2, off
	global_store_dword v[18:19], v3, off
	;; [unrolled: 1-line block ×16, first 2 shown]
	.loc	1 43 4 is_stmt 0                ; indirect_matmul.py:43:4
	s_endpgm
.Ltmp2:
	.section	.rodata,"a",@progbits
	.p2align	6, 0x0
	.amdhsa_kernel indirect_matmul_kernel
		.amdhsa_group_segment_fixed_size 0
		.amdhsa_private_segment_fixed_size 0
		.amdhsa_kernarg_size 80
		.amdhsa_user_sgpr_count 16
		.amdhsa_user_sgpr_private_segment_buffer 1
		.amdhsa_user_sgpr_dispatch_ptr 0
		.amdhsa_user_sgpr_queue_ptr 0
		.amdhsa_user_sgpr_kernarg_segment_ptr 1
		.amdhsa_user_sgpr_dispatch_id 0
		.amdhsa_user_sgpr_flat_scratch_init 0
		.amdhsa_user_sgpr_kernarg_preload_length 10
		.amdhsa_user_sgpr_kernarg_preload_offset 0
		.amdhsa_user_sgpr_private_segment_size 0
		.amdhsa_uses_dynamic_stack 0
		.amdhsa_system_sgpr_private_segment_wavefront_offset 0
		.amdhsa_system_sgpr_workgroup_id_x 1
		.amdhsa_system_sgpr_workgroup_id_y 0
		.amdhsa_system_sgpr_workgroup_id_z 0
		.amdhsa_system_sgpr_workgroup_info 0
		.amdhsa_system_vgpr_workitem_id 0
		.amdhsa_next_free_vgpr 79
		.amdhsa_next_free_sgpr 18
		.amdhsa_accum_offset 80
		.amdhsa_reserve_vcc 1
		.amdhsa_reserve_flat_scratch 0
		.amdhsa_reserve_xnack_mask 1
		.amdhsa_float_round_mode_32 0
		.amdhsa_float_round_mode_16_64 0
		.amdhsa_float_denorm_mode_32 3
		.amdhsa_float_denorm_mode_16_64 3
		.amdhsa_dx10_clamp 1
		.amdhsa_ieee_mode 1
		.amdhsa_fp16_overflow 0
		.amdhsa_tg_split 0
		.amdhsa_exception_fp_ieee_invalid_op 0
		.amdhsa_exception_fp_denorm_src 0
		.amdhsa_exception_fp_ieee_div_zero 0
		.amdhsa_exception_fp_ieee_overflow 0
		.amdhsa_exception_fp_ieee_underflow 0
		.amdhsa_exception_fp_ieee_inexact 0
		.amdhsa_exception_int_div_zero 0
	.end_amdhsa_kernel
	.text
.Lfunc_end0:
	.size	indirect_matmul_kernel, .Lfunc_end0-indirect_matmul_kernel
	.cfi_endproc
                                        ; -- End function
	.set indirect_matmul_kernel.num_vgpr, 79
	.set indirect_matmul_kernel.num_agpr, 0
	.set indirect_matmul_kernel.numbered_sgpr, 18
	.set indirect_matmul_kernel.num_named_barrier, 0
	.set indirect_matmul_kernel.private_seg_size, 0
	.set indirect_matmul_kernel.uses_vcc, 1
	.set indirect_matmul_kernel.uses_flat_scratch, 0
	.set indirect_matmul_kernel.has_dyn_sized_stack, 0
	.set indirect_matmul_kernel.has_recursion, 0
	.set indirect_matmul_kernel.has_indirect_call, 0
	.section	.AMDGPU.csdata,"",@progbits
; Kernel info:
; codeLenInByte = 2560
; TotalNumSgprs: 22
; NumVgprs: 79
; NumAgprs: 0
; TotalNumVgprs: 79
; ScratchSize: 0
; MemoryBound: 0
; FloatMode: 240
; IeeeMode: 1
; LDSByteSize: 0 bytes/workgroup (compile time only)
; SGPRBlocks: 2
; VGPRBlocks: 9
; NumSGPRsForWavesPerEU: 22
; NumVGPRsForWavesPerEU: 79
; AccumOffset: 80
; Occupancy: 6
; WaveLimiterHint : 1
; COMPUTE_PGM_RSRC2:SCRATCH_EN: 0
; COMPUTE_PGM_RSRC2:USER_SGPR: 16
; COMPUTE_PGM_RSRC2:TRAP_HANDLER: 0
; COMPUTE_PGM_RSRC2:TGID_X_EN: 1
; COMPUTE_PGM_RSRC2:TGID_Y_EN: 0
; COMPUTE_PGM_RSRC2:TGID_Z_EN: 0
; COMPUTE_PGM_RSRC2:TIDIG_COMP_CNT: 0
; COMPUTE_PGM_RSRC3_GFX90A:ACCUM_OFFSET: 19
; COMPUTE_PGM_RSRC3_GFX90A:TG_SPLIT: 0
	.text
	.p2alignl 6, 3212836864
	.fill 256, 4, 3212836864
	.section	.AMDGPU.gpr_maximums,"",@progbits
	.set amdgpu.max_num_vgpr, 0
	.set amdgpu.max_num_agpr, 0
	.set amdgpu.max_num_sgpr, 0
	.set amdgpu.max_num_named_barrier, 0
	.text
	.section	.debug_abbrev,"",@progbits
	.byte	1                               ; Abbreviation Code
	.byte	17                              ; DW_TAG_compile_unit
	.byte	0                               ; DW_CHILDREN_no
	.byte	37                              ; DW_AT_producer
	.byte	14                              ; DW_FORM_strp
	.byte	19                              ; DW_AT_language
	.byte	5                               ; DW_FORM_data2
	.byte	3                               ; DW_AT_name
	.byte	14                              ; DW_FORM_strp
	.byte	16                              ; DW_AT_stmt_list
	.byte	23                              ; DW_FORM_sec_offset
	.byte	27                              ; DW_AT_comp_dir
	.byte	14                              ; DW_FORM_strp
	.byte	17                              ; DW_AT_low_pc
	.byte	1                               ; DW_FORM_addr
	.byte	18                              ; DW_AT_high_pc
	.byte	6                               ; DW_FORM_data4
	.byte	0                               ; EOM(1)
	.byte	0                               ; EOM(2)
	.byte	0                               ; EOM(3)
	.section	.debug_info,"",@progbits
.Lcu_begin0:
	.long	.Ldebug_info_end0-.Ldebug_info_start0 ; Length of Unit
.Ldebug_info_start0:
	.short	4                               ; DWARF version number
	.long	.debug_abbrev                   ; Offset Into Abbrev. Section
	.byte	8                               ; Address Size (in bytes)
	.byte	1                               ; Abbrev [1] 0xb:0x1f DW_TAG_compile_unit
	.long	.Linfo_string0                  ; DW_AT_producer
	.short	2                               ; DW_AT_language
	.long	.Linfo_string1                  ; DW_AT_name
	.long	.Lline_table_start0             ; DW_AT_stmt_list
	.long	.Linfo_string2                  ; DW_AT_comp_dir
	.quad	.Lfunc_begin0                   ; DW_AT_low_pc
	.long	.Lfunc_end0-.Lfunc_begin0       ; DW_AT_high_pc
.Ldebug_info_end0:
	.section	.debug_str,"MS",@progbits,1
.Linfo_string0:
	.asciz	"triton"                        ; string offset=0
.Linfo_string1:
	.asciz	"indirect_matmul.py"            ; string offset=7
.Linfo_string2:
	.asciz	"/root/src/amdgpu-assembly/repos/triton-lang__triton-aot" ; string offset=26
	.section	".note.GNU-stack","",@progbits
	.amdgpu_metadata
---
amdhsa.kernels:
  - .agpr_count:     0
    .args:
      - .address_space:  global
        .offset:         0
        .size:           8
        .value_kind:     global_buffer
      - .offset:         8
        .size:           4
        .value_kind:     by_value
      - .address_space:  global
        .offset:         16
        .size:           8
        .value_kind:     global_buffer
      - .offset:         24
        .size:           4
        .value_kind:     by_value
      - .address_space:  global
        .offset:         32
        .size:           8
        .value_kind:     global_buffer
      - .offset:         40
        .size:           4
        .value_kind:     by_value
      - .address_space:  global
        .offset:         48
        .size:           8
        .value_kind:     global_buffer
      - .offset:         56
        .size:           4
        .value_kind:     by_value
      - .address_space:  global
        .offset:         64
        .size:           8
        .value_kind:     global_buffer
      - .address_space:  global
        .offset:         72
        .size:           8
        .value_kind:     global_buffer
    .group_segment_fixed_size: 0
    .kernarg_segment_align: 8
    .kernarg_segment_size: 80
    .max_flat_workgroup_size: 256
    .name:           indirect_matmul_kernel
    .private_segment_fixed_size: 0
    .sgpr_count:     22
    .sgpr_spill_count: 0
    .symbol:         indirect_matmul_kernel.kd
    .uniform_work_group_size: 1
    .uses_dynamic_stack: false
    .vgpr_count:     79
    .vgpr_spill_count: 0
    .wavefront_size: 64
amdhsa.target:   amdgcn-amd-amdhsa--gfx90a
amdhsa.version:
  - 1
  - 2
...

	.end_amdgpu_metadata
	.section	.debug_line,"",@progbits
.Lline_table_start0:
